;; amdgpu-corpus repo=ROCm/rocFFT kind=compiled arch=gfx906 opt=O3
	.text
	.amdgcn_target "amdgcn-amd-amdhsa--gfx906"
	.amdhsa_code_object_version 6
	.protected	fft_rtc_back_len170_factors_17_10_wgs_119_tpt_17_halfLds_sp_ip_CI_unitstride_sbrr_R2C_dirReg ; -- Begin function fft_rtc_back_len170_factors_17_10_wgs_119_tpt_17_halfLds_sp_ip_CI_unitstride_sbrr_R2C_dirReg
	.globl	fft_rtc_back_len170_factors_17_10_wgs_119_tpt_17_halfLds_sp_ip_CI_unitstride_sbrr_R2C_dirReg
	.p2align	8
	.type	fft_rtc_back_len170_factors_17_10_wgs_119_tpt_17_halfLds_sp_ip_CI_unitstride_sbrr_R2C_dirReg,@function
fft_rtc_back_len170_factors_17_10_wgs_119_tpt_17_halfLds_sp_ip_CI_unitstride_sbrr_R2C_dirReg: ; @fft_rtc_back_len170_factors_17_10_wgs_119_tpt_17_halfLds_sp_ip_CI_unitstride_sbrr_R2C_dirReg
; %bb.0:
	s_load_dwordx2 s[2:3], s[4:5], 0x50
	s_load_dwordx4 s[8:11], s[4:5], 0x0
	s_load_dwordx2 s[12:13], s[4:5], 0x18
	v_mul_u32_u24_e32 v1, 0xf10, v0
	v_lshrrev_b32_e32 v1, 16, v1
	v_mad_u64_u32 v[1:2], s[0:1], s6, 7, v[1:2]
	v_mov_b32_e32 v5, 0
	s_waitcnt lgkmcnt(0)
	v_cmp_lt_u64_e64 s[0:1], s[10:11], 2
	v_mov_b32_e32 v2, v5
	v_mov_b32_e32 v3, 0
	;; [unrolled: 1-line block ×3, first 2 shown]
	s_and_b64 vcc, exec, s[0:1]
	v_mov_b32_e32 v4, 0
	v_mov_b32_e32 v9, v1
	s_cbranch_vccnz .LBB0_8
; %bb.1:
	s_load_dwordx2 s[0:1], s[4:5], 0x10
	s_add_u32 s6, s12, 8
	s_addc_u32 s7, s13, 0
	v_mov_b32_e32 v3, 0
	v_mov_b32_e32 v8, v2
	s_waitcnt lgkmcnt(0)
	s_add_u32 s16, s0, 8
	s_mov_b64 s[14:15], 1
	v_mov_b32_e32 v4, 0
	s_addc_u32 s17, s1, 0
	v_mov_b32_e32 v7, v1
.LBB0_2:                                ; =>This Inner Loop Header: Depth=1
	s_load_dwordx2 s[18:19], s[16:17], 0x0
                                        ; implicit-def: $vgpr9_vgpr10
	s_waitcnt lgkmcnt(0)
	v_or_b32_e32 v6, s19, v8
	v_cmp_ne_u64_e32 vcc, 0, v[5:6]
	s_and_saveexec_b64 s[0:1], vcc
	s_xor_b64 s[20:21], exec, s[0:1]
	s_cbranch_execz .LBB0_4
; %bb.3:                                ;   in Loop: Header=BB0_2 Depth=1
	v_cvt_f32_u32_e32 v2, s18
	v_cvt_f32_u32_e32 v6, s19
	s_sub_u32 s0, 0, s18
	s_subb_u32 s1, 0, s19
	v_mac_f32_e32 v2, 0x4f800000, v6
	v_rcp_f32_e32 v2, v2
	v_mul_f32_e32 v2, 0x5f7ffffc, v2
	v_mul_f32_e32 v6, 0x2f800000, v2
	v_trunc_f32_e32 v6, v6
	v_mac_f32_e32 v2, 0xcf800000, v6
	v_cvt_u32_f32_e32 v6, v6
	v_cvt_u32_f32_e32 v2, v2
	v_mul_lo_u32 v9, s0, v6
	v_mul_hi_u32 v10, s0, v2
	v_mul_lo_u32 v12, s1, v2
	v_mul_lo_u32 v11, s0, v2
	v_add_u32_e32 v9, v10, v9
	v_add_u32_e32 v9, v9, v12
	v_mul_hi_u32 v10, v2, v11
	v_mul_lo_u32 v12, v2, v9
	v_mul_hi_u32 v14, v2, v9
	v_mul_hi_u32 v13, v6, v11
	v_mul_lo_u32 v11, v6, v11
	v_mul_hi_u32 v15, v6, v9
	v_add_co_u32_e32 v10, vcc, v10, v12
	v_addc_co_u32_e32 v12, vcc, 0, v14, vcc
	v_mul_lo_u32 v9, v6, v9
	v_add_co_u32_e32 v10, vcc, v10, v11
	v_addc_co_u32_e32 v10, vcc, v12, v13, vcc
	v_addc_co_u32_e32 v11, vcc, 0, v15, vcc
	v_add_co_u32_e32 v9, vcc, v10, v9
	v_addc_co_u32_e32 v10, vcc, 0, v11, vcc
	v_add_co_u32_e32 v2, vcc, v2, v9
	v_addc_co_u32_e32 v6, vcc, v6, v10, vcc
	v_mul_lo_u32 v9, s0, v6
	v_mul_hi_u32 v10, s0, v2
	v_mul_lo_u32 v11, s1, v2
	v_mul_lo_u32 v12, s0, v2
	v_add_u32_e32 v9, v10, v9
	v_add_u32_e32 v9, v9, v11
	v_mul_lo_u32 v13, v2, v9
	v_mul_hi_u32 v14, v2, v12
	v_mul_hi_u32 v15, v2, v9
	;; [unrolled: 1-line block ×3, first 2 shown]
	v_mul_lo_u32 v12, v6, v12
	v_mul_hi_u32 v10, v6, v9
	v_add_co_u32_e32 v13, vcc, v14, v13
	v_addc_co_u32_e32 v14, vcc, 0, v15, vcc
	v_mul_lo_u32 v9, v6, v9
	v_add_co_u32_e32 v12, vcc, v13, v12
	v_addc_co_u32_e32 v11, vcc, v14, v11, vcc
	v_addc_co_u32_e32 v10, vcc, 0, v10, vcc
	v_add_co_u32_e32 v9, vcc, v11, v9
	v_addc_co_u32_e32 v10, vcc, 0, v10, vcc
	v_add_co_u32_e32 v2, vcc, v2, v9
	v_addc_co_u32_e32 v6, vcc, v6, v10, vcc
	v_mad_u64_u32 v[9:10], s[0:1], v7, v6, 0
	v_mul_hi_u32 v11, v7, v2
	v_add_co_u32_e32 v13, vcc, v11, v9
	v_addc_co_u32_e32 v14, vcc, 0, v10, vcc
	v_mad_u64_u32 v[9:10], s[0:1], v8, v2, 0
	v_mad_u64_u32 v[11:12], s[0:1], v8, v6, 0
	v_add_co_u32_e32 v2, vcc, v13, v9
	v_addc_co_u32_e32 v2, vcc, v14, v10, vcc
	v_addc_co_u32_e32 v6, vcc, 0, v12, vcc
	v_add_co_u32_e32 v2, vcc, v2, v11
	v_addc_co_u32_e32 v6, vcc, 0, v6, vcc
	v_mul_lo_u32 v11, s19, v2
	v_mul_lo_u32 v12, s18, v6
	v_mad_u64_u32 v[9:10], s[0:1], s18, v2, 0
	v_add3_u32 v10, v10, v12, v11
	v_sub_u32_e32 v11, v8, v10
	v_mov_b32_e32 v12, s19
	v_sub_co_u32_e32 v9, vcc, v7, v9
	v_subb_co_u32_e64 v11, s[0:1], v11, v12, vcc
	v_subrev_co_u32_e64 v12, s[0:1], s18, v9
	v_subbrev_co_u32_e64 v11, s[0:1], 0, v11, s[0:1]
	v_cmp_le_u32_e64 s[0:1], s19, v11
	v_cndmask_b32_e64 v13, 0, -1, s[0:1]
	v_cmp_le_u32_e64 s[0:1], s18, v12
	v_cndmask_b32_e64 v12, 0, -1, s[0:1]
	v_cmp_eq_u32_e64 s[0:1], s19, v11
	v_cndmask_b32_e64 v11, v13, v12, s[0:1]
	v_add_co_u32_e64 v12, s[0:1], 2, v2
	v_addc_co_u32_e64 v13, s[0:1], 0, v6, s[0:1]
	v_add_co_u32_e64 v14, s[0:1], 1, v2
	v_addc_co_u32_e64 v15, s[0:1], 0, v6, s[0:1]
	v_subb_co_u32_e32 v10, vcc, v8, v10, vcc
	v_cmp_ne_u32_e64 s[0:1], 0, v11
	v_cmp_le_u32_e32 vcc, s19, v10
	v_cndmask_b32_e64 v11, v15, v13, s[0:1]
	v_cndmask_b32_e64 v13, 0, -1, vcc
	v_cmp_le_u32_e32 vcc, s18, v9
	v_cndmask_b32_e64 v9, 0, -1, vcc
	v_cmp_eq_u32_e32 vcc, s19, v10
	v_cndmask_b32_e32 v9, v13, v9, vcc
	v_cmp_ne_u32_e32 vcc, 0, v9
	v_cndmask_b32_e32 v10, v6, v11, vcc
	v_cndmask_b32_e64 v6, v14, v12, s[0:1]
	v_cndmask_b32_e32 v9, v2, v6, vcc
.LBB0_4:                                ;   in Loop: Header=BB0_2 Depth=1
	s_andn2_saveexec_b64 s[0:1], s[20:21]
	s_cbranch_execz .LBB0_6
; %bb.5:                                ;   in Loop: Header=BB0_2 Depth=1
	v_cvt_f32_u32_e32 v2, s18
	s_sub_i32 s20, 0, s18
	v_rcp_iflag_f32_e32 v2, v2
	v_mul_f32_e32 v2, 0x4f7ffffe, v2
	v_cvt_u32_f32_e32 v2, v2
	v_mul_lo_u32 v6, s20, v2
	v_mul_hi_u32 v6, v2, v6
	v_add_u32_e32 v2, v2, v6
	v_mul_hi_u32 v2, v7, v2
	v_mul_lo_u32 v6, v2, s18
	v_add_u32_e32 v9, 1, v2
	v_sub_u32_e32 v6, v7, v6
	v_subrev_u32_e32 v10, s18, v6
	v_cmp_le_u32_e32 vcc, s18, v6
	v_cndmask_b32_e32 v6, v6, v10, vcc
	v_cndmask_b32_e32 v2, v2, v9, vcc
	v_add_u32_e32 v9, 1, v2
	v_cmp_le_u32_e32 vcc, s18, v6
	v_cndmask_b32_e32 v9, v2, v9, vcc
	v_mov_b32_e32 v10, v5
.LBB0_6:                                ;   in Loop: Header=BB0_2 Depth=1
	s_or_b64 exec, exec, s[0:1]
	v_mul_lo_u32 v2, v10, s18
	v_mul_lo_u32 v6, v9, s19
	v_mad_u64_u32 v[11:12], s[0:1], v9, s18, 0
	s_load_dwordx2 s[0:1], s[6:7], 0x0
	s_add_u32 s14, s14, 1
	v_add3_u32 v2, v12, v6, v2
	v_sub_co_u32_e32 v6, vcc, v7, v11
	v_subb_co_u32_e32 v2, vcc, v8, v2, vcc
	s_waitcnt lgkmcnt(0)
	v_mul_lo_u32 v2, s0, v2
	v_mul_lo_u32 v7, s1, v6
	v_mad_u64_u32 v[3:4], s[0:1], s0, v6, v[3:4]
	s_addc_u32 s15, s15, 0
	s_add_u32 s6, s6, 8
	v_add3_u32 v4, v7, v4, v2
	v_mov_b32_e32 v6, s10
	v_mov_b32_e32 v7, s11
	s_addc_u32 s7, s7, 0
	v_cmp_ge_u64_e32 vcc, s[14:15], v[6:7]
	s_add_u32 s16, s16, 8
	s_addc_u32 s17, s17, 0
	s_cbranch_vccnz .LBB0_8
; %bb.7:                                ;   in Loop: Header=BB0_2 Depth=1
	v_mov_b32_e32 v7, v9
	v_mov_b32_e32 v8, v10
	s_branch .LBB0_2
.LBB0_8:
	s_lshl_b64 s[0:1], s[10:11], 3
	s_add_u32 s0, s12, s0
	s_addc_u32 s1, s13, s1
	s_load_dwordx2 s[6:7], s[0:1], 0x0
	s_load_dwordx2 s[10:11], s[4:5], 0x20
	s_mov_b32 s0, 0x24924925
	v_mul_hi_u32 v5, v1, s0
	s_waitcnt lgkmcnt(0)
	v_mad_u64_u32 v[2:3], s[0:1], s6, v9, v[3:4]
	v_sub_u32_e32 v4, v1, v5
	v_lshrrev_b32_e32 v4, 1, v4
	v_add_u32_e32 v4, v4, v5
	v_lshrrev_b32_e32 v4, 2, v4
	s_mov_b32 s0, 0xf0f0f10
	v_mul_lo_u32 v6, s6, v10
	v_mul_lo_u32 v7, s7, v9
	;; [unrolled: 1-line block ×3, first 2 shown]
	v_mul_hi_u32 v5, v0, s0
	v_cmp_gt_u64_e32 vcc, s[10:11], v[9:10]
	v_add3_u32 v3, v7, v3, v6
	v_sub_u32_e32 v1, v1, v4
	v_mul_u32_u24_e32 v4, 17, v5
	v_mul_u32_u24_e32 v1, 0xab, v1
	v_sub_u32_e32 v32, v0, v4
	v_lshlrev_b64 v[34:35], 3, v[2:3]
	v_lshlrev_b32_e32 v41, 3, v1
	v_lshlrev_b32_e32 v39, 3, v32
	s_and_saveexec_b64 s[4:5], vcc
	s_cbranch_execz .LBB0_10
; %bb.9:
	v_mov_b32_e32 v33, 0
	v_mov_b32_e32 v0, s3
	v_add_co_u32_e64 v2, s[0:1], s2, v34
	v_addc_co_u32_e64 v3, s[0:1], v0, v35, s[0:1]
	v_lshlrev_b64 v[0:1], 3, v[32:33]
	v_add_co_u32_e64 v0, s[0:1], v2, v0
	v_addc_co_u32_e64 v1, s[0:1], v3, v1, s[0:1]
	global_load_dwordx2 v[2:3], v[0:1], off
	global_load_dwordx2 v[4:5], v[0:1], off offset:136
	global_load_dwordx2 v[6:7], v[0:1], off offset:272
	global_load_dwordx2 v[8:9], v[0:1], off offset:408
	global_load_dwordx2 v[10:11], v[0:1], off offset:544
	global_load_dwordx2 v[12:13], v[0:1], off offset:680
	global_load_dwordx2 v[14:15], v[0:1], off offset:816
	global_load_dwordx2 v[16:17], v[0:1], off offset:952
	global_load_dwordx2 v[18:19], v[0:1], off offset:1088
	global_load_dwordx2 v[20:21], v[0:1], off offset:1224
	v_add3_u32 v0, 0, v41, v39
	s_waitcnt vmcnt(8)
	ds_write2_b64 v0, v[2:3], v[4:5] offset1:17
	s_waitcnt vmcnt(6)
	ds_write2_b64 v0, v[6:7], v[8:9] offset0:34 offset1:51
	s_waitcnt vmcnt(4)
	ds_write2_b64 v0, v[10:11], v[12:13] offset0:68 offset1:85
	;; [unrolled: 2-line block ×4, first 2 shown]
.LBB0_10:
	s_or_b64 exec, exec, s[4:5]
	v_add_u32_e32 v33, 0, v41
	v_add_u32_e32 v38, v33, v39
	v_add3_u32 v40, 0, v39, v41
	s_waitcnt lgkmcnt(0)
	s_barrier
	ds_read_b64 v[36:37], v38
	ds_read2_b64 v[0:3], v40 offset0:10 offset1:20
	ds_read2_b64 v[4:7], v40 offset0:30 offset1:40
	;; [unrolled: 1-line block ×8, first 2 shown]
	v_cmp_gt_u32_e64 s[0:1], 10, v32
	s_waitcnt lgkmcnt(0)
	s_barrier
	s_and_saveexec_b64 s[4:5], s[0:1]
	s_cbranch_execz .LBB0_12
; %bb.11:
	v_add_f32_e32 v47, v37, v1
	v_add_f32_e32 v47, v47, v3
	;; [unrolled: 1-line block ×14, first 2 shown]
	v_sub_f32_e32 v42, v28, v26
	v_add_f32_e32 v44, v26, v28
	v_add_f32_e32 v28, v47, v28
	;; [unrolled: 1-line block ×5, first 2 shown]
	v_sub_f32_e32 v47, v29, v27
	v_sub_f32_e32 v29, v31, v25
	v_add_f32_e32 v25, v48, v25
	v_sub_f32_e32 v43, v30, v24
	v_add_f32_e32 v28, v24, v30
	v_add_f32_e32 v48, v25, v27
	;; [unrolled: 1-line block ×5, first 2 shown]
	v_sub_f32_e32 v30, v17, v23
	v_add_f32_e32 v17, v48, v21
	v_add_f32_e32 v52, v21, v19
	v_sub_f32_e32 v27, v19, v21
	v_add_f32_e32 v21, v17, v23
	v_add_f32_e32 v17, v49, v20
	;; [unrolled: 1-line block ×3, first 2 shown]
	v_sub_f32_e32 v25, v16, v22
	v_add_f32_e32 v24, v22, v16
	v_add_f32_e32 v22, v17, v22
	v_sub_f32_e32 v19, v4, v14
	v_add_f32_e32 v17, v14, v4
	v_add_f32_e32 v4, v21, v13
	;; [unrolled: 1-line block ×3, first 2 shown]
	v_mul_f32_e32 v21, 0xbf7ba420, v56
	v_sub_f32_e32 v26, v18, v20
	v_add_f32_e32 v16, v20, v18
	v_add_f32_e32 v53, v15, v5
	;; [unrolled: 1-line block ×3, first 2 shown]
	v_sub_f32_e32 v20, v6, v12
	v_sub_f32_e32 v54, v5, v15
	v_add_f32_e32 v18, v12, v6
	v_sub_f32_e32 v55, v7, v13
	v_add_f32_e32 v4, v4, v15
	v_add_f32_e32 v5, v22, v12
	v_sub_f32_e32 v15, v0, v10
	v_sub_f32_e32 v13, v2, v8
	v_add_f32_e32 v12, v8, v2
	v_mov_b32_e32 v2, v21
	v_mul_f32_e32 v22, 0x3f6eb680, v57
	v_sub_f32_e32 v59, v3, v9
	v_fmac_f32_e32 v2, 0x3e3c28d5, v15
	v_mov_b32_e32 v3, v22
	v_add_f32_e32 v2, v37, v2
	v_fmac_f32_e32 v3, 0xbeb8f4ab, v13
	v_mul_f32_e32 v60, 0xbf59a7d5, v53
	v_add_f32_e32 v2, v3, v2
	v_mov_b32_e32 v3, v60
	v_fmac_f32_e32 v3, 0x3f06c442, v19
	v_mul_f32_e32 v61, 0x3f3d2fb0, v23
	v_add_f32_e32 v2, v3, v2
	v_mov_b32_e32 v3, v61
	;; [unrolled: 4-line block ×4, first 2 shown]
	v_fmac_f32_e32 v3, 0xbf65296c, v26
	v_mul_f32_e32 v64, 0xbe8c1d8e, v46
	v_sub_f32_e32 v58, v1, v11
	v_add_f32_e32 v2, v3, v2
	v_mov_b32_e32 v3, v64
	v_fmac_f32_e32 v3, 0x3f763a35, v42
	v_mul_f32_e32 v65, 0xbe3c28d5, v58
	v_add_f32_e32 v5, v5, v14
	v_add_f32_e32 v14, v10, v0
	;; [unrolled: 1-line block ×3, first 2 shown]
	v_mov_b32_e32 v3, v65
	v_mul_f32_e32 v66, 0x3eb8f4ab, v59
	v_add_f32_e32 v0, v4, v9
	v_fmac_f32_e32 v3, 0xbf7ba420, v14
	v_mov_b32_e32 v4, v66
	v_add_f32_e32 v3, v36, v3
	v_fmac_f32_e32 v4, 0x3f6eb680, v12
	v_mul_f32_e32 v67, 0xbf06c442, v54
	v_add_f32_e32 v3, v4, v3
	v_mov_b32_e32 v4, v67
	v_fmac_f32_e32 v4, 0xbf59a7d5, v17
	v_mul_f32_e32 v68, 0x3f2c7751, v55
	v_add_f32_e32 v3, v4, v3
	v_mov_b32_e32 v4, v68
	;; [unrolled: 4-line block ×8, first 2 shown]
	v_mul_f32_e32 v75, 0x3ee437d1, v57
	v_add_f32_e32 v1, v0, v11
	v_add_f32_e32 v0, v5, v8
	v_fmac_f32_e32 v4, 0x3f06c442, v15
	v_mov_b32_e32 v5, v75
	v_add_f32_e32 v4, v37, v4
	v_fmac_f32_e32 v5, 0xbf65296c, v13
	v_mul_f32_e32 v76, 0x3dbcf732, v53
	v_add_f32_e32 v4, v5, v4
	v_mov_b32_e32 v5, v76
	v_fmac_f32_e32 v5, 0x3f7ee86f, v19
	v_mul_f32_e32 v77, 0xbf1a4643, v23
	v_add_f32_e32 v4, v5, v4
	v_mov_b32_e32 v5, v77
	;; [unrolled: 4-line block ×6, first 2 shown]
	v_mul_f32_e32 v82, 0x3f65296c, v59
	v_fmac_f32_e32 v5, 0xbf59a7d5, v14
	v_mov_b32_e32 v6, v82
	v_add_f32_e32 v5, v36, v5
	v_fmac_f32_e32 v6, 0x3ee437d1, v12
	v_mul_f32_e32 v83, 0xbf7ee86f, v54
	v_add_f32_e32 v5, v6, v5
	v_mov_b32_e32 v6, v83
	v_fmac_f32_e32 v6, 0x3dbcf732, v17
	v_mul_f32_e32 v84, 0x3f4c4adb, v55
	v_add_f32_e32 v5, v6, v5
	v_mov_b32_e32 v6, v84
	;; [unrolled: 4-line block ×8, first 2 shown]
	v_mul_f32_e32 v91, 0xbe8c1d8e, v57
	v_fmac_f32_e32 v6, 0x3f4c4adb, v15
	v_mov_b32_e32 v7, v91
	v_add_f32_e32 v6, v37, v6
	v_fmac_f32_e32 v7, 0xbf763a35, v13
	v_mul_f32_e32 v92, 0x3f6eb680, v53
	v_add_f32_e32 v6, v7, v6
	v_mov_b32_e32 v7, v92
	v_fmac_f32_e32 v7, 0x3eb8f4ab, v19
	v_mul_f32_e32 v93, 0xbf59a7d5, v23
	v_add_f32_e32 v6, v7, v6
	v_mov_b32_e32 v7, v93
	;; [unrolled: 4-line block ×6, first 2 shown]
	v_mul_f32_e32 v98, 0x3f763a35, v59
	v_fmac_f32_e32 v7, 0xbf1a4643, v14
	v_mov_b32_e32 v8, v98
	v_add_f32_e32 v7, v36, v7
	v_fmac_f32_e32 v8, 0xbe8c1d8e, v12
	v_mul_f32_e32 v99, 0xbeb8f4ab, v54
	v_add_f32_e32 v7, v8, v7
	v_mov_b32_e32 v8, v99
	v_fmac_f32_e32 v8, 0x3f6eb680, v17
	v_mul_f32_e32 v100, 0xbf06c442, v55
	v_add_f32_e32 v7, v8, v7
	v_mov_b32_e32 v8, v100
	;; [unrolled: 4-line block ×8, first 2 shown]
	v_mul_f32_e32 v107, 0xbf59a7d5, v57
	v_fmac_f32_e32 v8, 0x3f763a35, v15
	v_mov_b32_e32 v9, v107
	v_add_f32_e32 v8, v37, v8
	v_fmac_f32_e32 v9, 0xbf06c442, v13
	v_mul_f32_e32 v108, 0x3f3d2fb0, v53
	v_add_f32_e32 v8, v9, v8
	v_mov_b32_e32 v9, v108
	v_fmac_f32_e32 v9, 0xbf2c7751, v19
	v_mul_f32_e32 v109, 0x3ee437d1, v23
	v_add_f32_e32 v8, v9, v8
	v_mov_b32_e32 v9, v109
	;; [unrolled: 4-line block ×6, first 2 shown]
	v_mul_f32_e32 v114, 0x3f06c442, v59
	v_add_f32_e32 v0, v0, v10
	v_fmac_f32_e32 v9, 0xbe8c1d8e, v14
	v_mov_b32_e32 v10, v114
	v_add_f32_e32 v9, v36, v9
	v_fmac_f32_e32 v10, 0xbf59a7d5, v12
	v_mul_f32_e32 v115, 0x3f2c7751, v54
	v_add_f32_e32 v9, v10, v9
	v_mov_b32_e32 v10, v115
	v_fmac_f32_e32 v10, 0x3f3d2fb0, v17
	v_mul_f32_e32 v116, 0xbf65296c, v55
	v_add_f32_e32 v9, v10, v9
	v_mov_b32_e32 v10, v116
	v_fmac_f32_e32 v10, 0x3ee437d1, v18
	v_mul_f32_e32 v117, 0xbe3c28d5, v30
	v_add_f32_e32 v9, v10, v9
	v_mov_b32_e32 v10, v117
	v_fmac_f32_e32 v10, 0xbf7ba420, v24
	v_mul_f32_e32 v118, 0x3f7ee86f, v27
	v_add_f32_e32 v9, v10, v9
	v_mov_b32_e32 v10, v118
	v_fmac_f32_e32 v10, 0x3dbcf732, v16
	v_mul_f32_e32 v119, 0xbeb8f4ab, v47
	v_add_f32_e32 v9, v10, v9
	v_mov_b32_e32 v10, v119
	v_fmac_f32_e32 v10, 0x3f6eb680, v44
	v_mul_f32_e32 v120, 0xbf1a4643, v45
	v_add_f32_e32 v10, v10, v9
	v_mov_b32_e32 v9, v120
	v_fmac_f32_e32 v9, 0x3f4c4adb, v43
	v_mul_f32_e32 v121, 0xbf4c4adb, v29
	v_add_f32_e32 v9, v9, v8
	v_mov_b32_e32 v8, v121
	v_fmac_f32_e32 v8, 0xbf1a4643, v28
	v_mul_f32_e32 v122, 0x3dbcf732, v56
	v_add_f32_e32 v8, v8, v10
	v_mov_b32_e32 v10, v122
	v_mul_f32_e32 v123, 0xbf7ba420, v57
	v_fmac_f32_e32 v10, 0x3f7ee86f, v15
	v_mov_b32_e32 v11, v123
	v_add_f32_e32 v10, v37, v10
	v_fmac_f32_e32 v11, 0x3e3c28d5, v13
	v_mul_f32_e32 v124, 0xbe8c1d8e, v53
	v_add_f32_e32 v10, v11, v10
	v_mov_b32_e32 v11, v124
	v_fmac_f32_e32 v11, 0xbf763a35, v19
	v_mul_f32_e32 v125, 0x3f6eb680, v23
	v_add_f32_e32 v10, v11, v10
	v_mov_b32_e32 v11, v125
	v_fmac_f32_e32 v11, 0xbeb8f4ab, v20
	v_mul_f32_e32 v126, 0x3ee437d1, v31
	v_add_f32_e32 v10, v11, v10
	v_mov_b32_e32 v11, v126
	v_fmac_f32_e32 v11, 0x3f65296c, v25
	v_mul_f32_e32 v127, 0xbf59a7d5, v52
	v_add_f32_e32 v10, v11, v10
	v_mov_b32_e32 v11, v127
	v_fmac_f32_e32 v11, 0x3f06c442, v26
	v_mul_f32_e32 v128, 0xbf1a4643, v46
	v_add_f32_e32 v10, v11, v10
	v_mov_b32_e32 v11, v128
	v_fmac_f32_e32 v11, 0xbf4c4adb, v42
	v_mul_f32_e32 v129, 0xbf7ee86f, v58
	v_add_f32_e32 v10, v11, v10
	v_mov_b32_e32 v11, v129
	v_mul_f32_e32 v130, 0xbe3c28d5, v59
	v_fmac_f32_e32 v11, 0x3dbcf732, v14
	v_mov_b32_e32 v48, v130
	v_add_f32_e32 v11, v36, v11
	v_fmac_f32_e32 v48, 0xbf7ba420, v12
	v_mul_f32_e32 v131, 0x3f763a35, v54
	v_add_f32_e32 v11, v48, v11
	v_mov_b32_e32 v48, v131
	v_fmac_f32_e32 v48, 0xbe8c1d8e, v17
	v_mul_f32_e32 v132, 0x3eb8f4ab, v55
	v_add_f32_e32 v11, v48, v11
	v_mov_b32_e32 v48, v132
	v_fmac_f32_e32 v48, 0x3f6eb680, v18
	v_mul_f32_e32 v133, 0xbf65296c, v30
	v_add_f32_e32 v11, v48, v11
	v_mov_b32_e32 v48, v133
	v_fmac_f32_e32 v48, 0x3ee437d1, v24
	v_mul_f32_e32 v134, 0xbf06c442, v27
	v_add_f32_e32 v11, v48, v11
	v_mov_b32_e32 v48, v134
	v_fmac_f32_e32 v48, 0xbf59a7d5, v16
	v_mul_f32_e32 v135, 0x3f4c4adb, v47
	v_add_f32_e32 v11, v48, v11
	v_mov_b32_e32 v48, v135
	v_fmac_f32_e32 v48, 0xbf1a4643, v44
	v_mul_f32_e32 v136, 0x3f3d2fb0, v45
	v_add_f32_e32 v48, v48, v11
	v_mov_b32_e32 v11, v136
	v_fmac_f32_e32 v11, 0xbf2c7751, v43
	v_mul_f32_e32 v137, 0x3f2c7751, v29
	v_add_f32_e32 v11, v11, v10
	v_mov_b32_e32 v10, v137
	v_fmac_f32_e32 v10, 0x3f3d2fb0, v28
	v_mul_f32_e32 v138, 0x3ee437d1, v56
	v_add_f32_e32 v10, v10, v48
	v_mov_b32_e32 v48, v138
	v_mul_f32_e32 v139, 0xbf1a4643, v57
	v_fmac_f32_e32 v48, 0x3f65296c, v15
	v_mov_b32_e32 v49, v139
	v_add_f32_e32 v48, v37, v48
	v_fmac_f32_e32 v49, 0x3f4c4adb, v13
	v_mul_f32_e32 v140, 0xbf7ba420, v53
	v_add_f32_e32 v48, v49, v48
	v_mov_b32_e32 v49, v140
	v_fmac_f32_e32 v49, 0xbe3c28d5, v19
	v_mul_f32_e32 v141, 0xbe8c1d8e, v23
	v_add_f32_e32 v48, v49, v48
	v_mov_b32_e32 v49, v141
	v_fmac_f32_e32 v49, 0xbf763a35, v20
	v_mul_f32_e32 v142, 0x3f3d2fb0, v31
	v_add_f32_e32 v48, v49, v48
	v_mov_b32_e32 v49, v142
	v_fmac_f32_e32 v49, 0xbf2c7751, v25
	v_mul_f32_e32 v143, 0x3f6eb680, v52
	v_add_f32_e32 v48, v49, v48
	v_mov_b32_e32 v49, v143
	v_fmac_f32_e32 v49, 0x3eb8f4ab, v26
	v_mul_f32_e32 v144, 0x3dbcf732, v46
	v_add_f32_e32 v48, v49, v48
	v_mov_b32_e32 v49, v144
	v_fmac_f32_e32 v49, 0x3f7ee86f, v42
	v_mul_f32_e32 v145, 0xbf65296c, v58
	v_add_f32_e32 v48, v49, v48
	v_mov_b32_e32 v49, v145
	v_mul_f32_e32 v146, 0xbf4c4adb, v59
	;; [unrolled: 64-line block ×3, first 2 shown]
	v_fmac_f32_e32 v51, 0x3f3d2fb0, v14
	v_mov_b32_e32 v163, v162
	v_add_f32_e32 v51, v36, v51
	v_fmac_f32_e32 v163, 0x3dbcf732, v12
	v_add_f32_e32 v51, v163, v51
	v_mul_f32_e32 v163, 0xbf4c4adb, v54
	v_mov_b32_e32 v164, v163
	v_fmac_f32_e32 v164, 0xbf1a4643, v17
	v_add_f32_e32 v51, v164, v51
	v_mul_f32_e32 v164, 0xbe3c28d5, v55
	v_mov_b32_e32 v165, v164
	;; [unrolled: 4-line block ×5, first 2 shown]
	v_fmac_f32_e32 v168, 0x3ee437d1, v44
	v_mul_f32_e32 v169, 0x3f6eb680, v45
	v_add_f32_e32 v168, v168, v51
	v_mov_b32_e32 v51, v169
	v_fmac_f32_e32 v51, 0xbeb8f4ab, v43
	v_mul_f32_e32 v170, 0x3eb8f4ab, v29
	v_add_f32_e32 v51, v51, v50
	v_mov_b32_e32 v50, v170
	v_fmac_f32_e32 v50, 0x3f6eb680, v28
	v_add_f32_e32 v50, v50, v168
	v_mul_f32_e32 v168, 0x3f6eb680, v56
	v_mov_b32_e32 v56, v168
	v_mul_f32_e32 v171, 0x3f3d2fb0, v57
	v_fmac_f32_e32 v56, 0x3eb8f4ab, v15
	v_mov_b32_e32 v57, v171
	v_mul_f32_e32 v172, 0x3ee437d1, v53
	v_add_f32_e32 v56, v37, v56
	v_fmac_f32_e32 v57, 0x3f2c7751, v13
	v_mov_b32_e32 v53, v172
	v_add_f32_e32 v56, v57, v56
	v_fmac_f32_e32 v53, 0x3f65296c, v19
	v_mul_f32_e32 v23, 0x3dbcf732, v23
	v_add_f32_e32 v53, v53, v56
	v_mov_b32_e32 v56, v23
	v_fmac_f32_e32 v56, 0x3f7ee86f, v20
	v_mul_f32_e32 v31, 0xbe8c1d8e, v31
	v_add_f32_e32 v53, v56, v53
	v_mov_b32_e32 v56, v31
	v_mul_f32_e32 v173, 0xbf1a4643, v52
	v_fmac_f32_e32 v56, 0x3f763a35, v25
	v_mov_b32_e32 v52, v173
	v_mul_f32_e32 v174, 0xbf59a7d5, v46
	v_add_f32_e32 v53, v56, v53
	v_fmac_f32_e32 v52, 0x3f4c4adb, v26
	v_mov_b32_e32 v46, v174
	v_add_f32_e32 v52, v52, v53
	v_fmac_f32_e32 v46, 0x3f06c442, v42
	v_mul_f32_e32 v175, 0xbeb8f4ab, v58
	v_add_f32_e32 v46, v46, v52
	v_mov_b32_e32 v52, v175
	v_mul_f32_e32 v176, 0xbf2c7751, v59
	v_fmac_f32_e32 v52, 0x3f6eb680, v14
	v_mov_b32_e32 v53, v176
	v_add_f32_e32 v52, v36, v52
	v_fmac_f32_e32 v53, 0x3f3d2fb0, v12
	v_mul_f32_e32 v177, 0xbf65296c, v54
	v_add_f32_e32 v52, v53, v52
	v_mov_b32_e32 v53, v177
	v_fmac_f32_e32 v53, 0x3ee437d1, v17
	v_mul_f32_e32 v178, 0xbf7ee86f, v55
	v_fmac_f32_e32 v21, 0xbe3c28d5, v15
	v_add_f32_e32 v52, v53, v52
	v_mov_b32_e32 v53, v178
	v_mul_f32_e32 v179, 0xbf763a35, v30
	v_add_f32_e32 v21, v37, v21
	v_fmac_f32_e32 v22, 0x3eb8f4ab, v13
	s_mov_b32 s0, 0xbf7ba420
	v_fmac_f32_e32 v53, 0x3dbcf732, v18
	v_mov_b32_e32 v30, v179
	v_add_f32_e32 v21, v22, v21
	s_mov_b32 s12, 0x3f6eb680
	v_fma_f32 v22, v14, s0, -v65
	v_add_f32_e32 v52, v53, v52
	v_fmac_f32_e32 v30, 0xbe8c1d8e, v24
	v_mul_f32_e32 v27, 0xbf4c4adb, v27
	v_mul_f32_e32 v180, 0xbf7ba420, v45
	v_fmac_f32_e32 v60, 0xbf06c442, v19
	v_add_f32_e32 v22, v36, v22
	v_fma_f32 v45, v12, s12, -v66
	s_mov_b32 s1, 0xbf59a7d5
	v_add_f32_e32 v30, v30, v52
	v_mov_b32_e32 v52, v27
	v_add_f32_e32 v21, v60, v21
	v_fmac_f32_e32 v61, 0x3f2c7751, v20
	v_add_f32_e32 v22, v45, v22
	v_fma_f32 v45, v17, s1, -v67
	s_mov_b32 s7, 0x3f3d2fb0
	v_fmac_f32_e32 v52, 0xbf1a4643, v16
	v_mul_f32_e32 v47, 0xbf06c442, v47
	v_add_f32_e32 v21, v61, v21
	v_fmac_f32_e32 v62, 0xbf4c4adb, v25
	v_add_f32_e32 v22, v45, v22
	v_fma_f32 v45, v18, s7, -v68
	s_mov_b32 s6, 0xbf1a4643
	v_add_f32_e32 v30, v52, v30
	v_mov_b32_e32 v52, v47
	v_add_f32_e32 v21, v62, v21
	v_fmac_f32_e32 v63, 0x3f65296c, v26
	v_add_f32_e32 v22, v45, v22
	v_fma_f32 v45, v24, s6, -v69
	s_mov_b32 s11, 0x3ee437d1
	v_fmac_f32_e32 v52, 0xbf59a7d5, v44
	v_add_f32_e32 v21, v63, v21
	v_fmac_f32_e32 v64, 0xbf763a35, v42
	v_add_f32_e32 v22, v45, v22
	v_fma_f32 v45, v16, s11, -v70
	s_mov_b32 s10, 0xbe8c1d8e
	v_add_f32_e32 v52, v52, v30
	v_mov_b32_e32 v30, v180
	v_mul_f32_e32 v181, 0xbe3c28d5, v29
	v_add_f32_e32 v21, v64, v21
	v_add_f32_e32 v22, v45, v22
	v_fma_f32 v45, v44, s10, -v71
	s_mov_b32 s13, 0x3dbcf732
	v_fmac_f32_e32 v72, 0x3f7ee86f, v43
	v_fmac_f32_e32 v30, 0x3e3c28d5, v43
	v_mov_b32_e32 v29, v181
	v_add_f32_e32 v45, v45, v22
	v_add_f32_e32 v22, v72, v21
	v_fma_f32 v21, v28, s13, -v73
	v_fmac_f32_e32 v74, 0xbf06c442, v15
	v_add_f32_e32 v30, v30, v46
	v_fmac_f32_e32 v29, 0xbf7ba420, v28
	v_add_f32_e32 v21, v21, v45
	v_add_f32_e32 v45, v37, v74
	v_fmac_f32_e32 v75, 0x3f65296c, v13
	v_fma_f32 v46, v14, s1, -v81
	v_add_f32_e32 v29, v29, v52
	v_add_f32_e32 v45, v75, v45
	v_fmac_f32_e32 v76, 0xbf7ee86f, v19
	v_add_f32_e32 v46, v36, v46
	v_fma_f32 v52, v12, s11, -v82
	v_add_f32_e32 v45, v76, v45
	v_fmac_f32_e32 v77, 0x3f4c4adb, v20
	v_add_f32_e32 v46, v52, v46
	v_fma_f32 v52, v17, s13, -v83
	v_add_f32_e32 v45, v77, v45
	v_fmac_f32_e32 v78, 0xbeb8f4ab, v25
	v_add_f32_e32 v46, v52, v46
	v_fma_f32 v52, v18, s6, -v84
	v_add_f32_e32 v45, v78, v45
	v_fmac_f32_e32 v79, 0xbe3c28d5, v26
	v_add_f32_e32 v46, v52, v46
	v_fma_f32 v52, v24, s12, -v85
	v_add_f32_e32 v45, v79, v45
	v_fmac_f32_e32 v80, 0x3f2c7751, v42
	v_add_f32_e32 v46, v52, v46
	v_fma_f32 v52, v16, s0, -v86
	v_add_f32_e32 v45, v80, v45
	v_add_f32_e32 v46, v52, v46
	v_fma_f32 v52, v44, s7, -v87
	v_fmac_f32_e32 v88, 0xbf763a35, v43
	v_add_f32_e32 v52, v52, v46
	v_add_f32_e32 v46, v88, v45
	v_fma_f32 v45, v28, s10, -v89
	v_fmac_f32_e32 v90, 0xbf4c4adb, v15
	v_add_f32_e32 v45, v45, v52
	v_add_f32_e32 v52, v37, v90
	v_fmac_f32_e32 v91, 0x3f763a35, v13
	v_fma_f32 v53, v14, s6, -v97
	v_add_f32_e32 v52, v91, v52
	v_fmac_f32_e32 v92, 0xbeb8f4ab, v19
	v_add_f32_e32 v53, v36, v53
	v_fma_f32 v54, v12, s10, -v98
	v_add_f32_e32 v52, v92, v52
	v_fmac_f32_e32 v93, 0xbf06c442, v20
	v_add_f32_e32 v53, v54, v53
	v_fma_f32 v54, v17, s12, -v99
	v_add_f32_e32 v52, v93, v52
	v_fmac_f32_e32 v94, 0x3f7ee86f, v25
	v_add_f32_e32 v53, v54, v53
	v_fma_f32 v54, v18, s1, -v100
	v_add_f32_e32 v52, v94, v52
	v_fmac_f32_e32 v95, 0xbf2c7751, v26
	v_add_f32_e32 v53, v54, v53
	v_fma_f32 v54, v24, s13, -v101
	v_add_f32_e32 v52, v95, v52
	v_fmac_f32_e32 v96, 0xbe3c28d5, v42
	v_add_f32_e32 v53, v54, v53
	v_fma_f32 v54, v16, s7, -v102
	v_add_f32_e32 v52, v96, v52
	v_add_f32_e32 v53, v54, v53
	v_fma_f32 v54, v44, s0, -v103
	v_fmac_f32_e32 v104, 0x3f65296c, v43
	v_add_f32_e32 v54, v54, v53
	v_add_f32_e32 v53, v104, v52
	v_fma_f32 v52, v28, s11, -v105
	v_fmac_f32_e32 v106, 0xbf763a35, v15
	v_add_f32_e32 v52, v52, v54
	v_add_f32_e32 v54, v37, v106
	v_fmac_f32_e32 v107, 0x3f06c442, v13
	v_fma_f32 v55, v14, s10, -v113
	;; [unrolled: 32-line block ×4, first 2 shown]
	v_add_f32_e32 v58, v139, v58
	v_fmac_f32_e32 v140, 0x3e3c28d5, v19
	v_add_f32_e32 v59, v36, v59
	v_fma_f32 v60, v12, s6, -v146
	v_add_f32_e32 v58, v140, v58
	v_fmac_f32_e32 v141, 0x3f763a35, v20
	v_add_f32_e32 v59, v60, v59
	v_fma_f32 v60, v17, s0, -v147
	;; [unrolled: 4-line block ×5, first 2 shown]
	v_add_f32_e32 v58, v144, v58
	v_add_f32_e32 v59, v60, v59
	v_fma_f32 v60, v44, s13, -v151
	v_fmac_f32_e32 v152, 0xbf06c442, v43
	v_fma_f32 v61, v14, s7, -v161
	v_fma_f32 v14, v14, s12, -v175
	v_add_f32_e32 v60, v60, v59
	v_add_f32_e32 v59, v152, v58
	v_fma_f32 v58, v28, s1, -v153
	v_fmac_f32_e32 v154, 0xbf2c7751, v15
	v_fma_f32 v62, v12, s13, -v162
	v_add_f32_e32 v14, v36, v14
	v_fma_f32 v12, v12, s7, -v176
	v_add_f32_e32 v58, v58, v60
	v_add_f32_e32 v60, v37, v154
	v_fmac_f32_e32 v155, 0xbf7ee86f, v13
	v_fmac_f32_e32 v168, 0xbeb8f4ab, v15
	v_add_f32_e32 v12, v12, v14
	v_fma_f32 v14, v17, s11, -v177
	v_add_f32_e32 v60, v155, v60
	v_fmac_f32_e32 v156, 0xbf4c4adb, v19
	v_add_f32_e32 v61, v36, v61
	v_add_f32_e32 v15, v37, v168
	v_fmac_f32_e32 v171, 0xbf2c7751, v13
	v_add_f32_e32 v12, v14, v12
	v_fma_f32 v14, v18, s13, -v178
	v_add_f32_e32 v60, v156, v60
	v_fmac_f32_e32 v157, 0xbe3c28d5, v20
	v_add_f32_e32 v61, v62, v61
	v_fma_f32 v62, v17, s6, -v163
	;; [unrolled: 4-line block ×9, first 2 shown]
	v_add_f32_e32 v60, v160, v60
	v_add_f32_e32 v61, v62, v61
	v_fma_f32 v62, v44, s11, -v167
	v_fmac_f32_e32 v169, 0x3eb8f4ab, v43
	v_add_f32_e32 v13, v173, v13
	v_fmac_f32_e32 v174, 0xbf06c442, v42
	v_add_f32_e32 v12, v14, v12
	v_mul_u32_u24_e32 v14, 0x88, v32
	v_add_f32_e32 v62, v62, v61
	v_add_f32_e32 v61, v169, v60
	v_fma_f32 v60, v28, s12, -v170
	v_add_f32_e32 v13, v174, v13
	v_fmac_f32_e32 v180, 0xbe3c28d5, v43
	v_add3_u32 v14, 0, v14, v41
	v_add_f32_e32 v60, v60, v62
	v_add_f32_e32 v13, v180, v13
	ds_write2_b64 v14, v[0:1], v[29:30] offset1:1
	ds_write2_b64 v14, v[50:51], v[48:49] offset0:2 offset1:3
	ds_write2_b64 v14, v[10:11], v[8:9] offset0:4 offset1:5
	;; [unrolled: 1-line block ×7, first 2 shown]
	ds_write_b64 v14, v[12:13] offset:128
.LBB0_12:
	s_or_b64 exec, exec, s[4:5]
	v_mul_u32_u24_e32 v0, 9, v32
	v_lshlrev_b32_e32 v16, 3, v0
	s_waitcnt lgkmcnt(0)
	s_barrier
	global_load_dwordx4 v[0:3], v16, s[8:9]
	global_load_dwordx4 v[4:7], v16, s[8:9] offset:16
	global_load_dwordx4 v[8:11], v16, s[8:9] offset:32
	;; [unrolled: 1-line block ×3, first 2 shown]
	global_load_dwordx2 v[36:37], v16, s[8:9] offset:64
	ds_read2_b64 v[16:19], v40 offset0:17 offset1:34
	ds_read2_b64 v[20:23], v40 offset0:51 offset1:68
	;; [unrolled: 1-line block ×4, first 2 shown]
	ds_read_b64 v[41:42], v38
	ds_read_b64 v[43:44], v40 offset:1224
	s_waitcnt vmcnt(0) lgkmcnt(0)
	s_barrier
	v_cmp_ne_u32_e64 s[0:1], 0, v32
	v_mul_f32_e32 v45, v1, v17
	v_mul_f32_e32 v48, v7, v23
	;; [unrolled: 1-line block ×9, first 2 shown]
	v_fmac_f32_e32 v48, v6, v22
	v_fmac_f32_e32 v50, v26, v10
	v_mul_f32_e32 v47, v5, v21
	v_mul_f32_e32 v5, v5, v20
	;; [unrolled: 1-line block ×7, first 2 shown]
	v_fmac_f32_e32 v45, v0, v16
	v_fma_f32 v16, v0, v17, -v1
	v_fmac_f32_e32 v46, v2, v18
	v_fma_f32 v0, v2, v19, -v3
	v_fma_f32 v3, v8, v25, -v9
	v_fmac_f32_e32 v52, v30, v14
	v_add_f32_e32 v9, v48, v50
	v_fmac_f32_e32 v47, v4, v20
	v_fma_f32 v1, v4, v21, -v5
	v_fma_f32 v2, v6, v23, -v7
	;; [unrolled: 1-line block ×3, first 2 shown]
	v_fmac_f32_e32 v51, v28, v12
	v_fma_f32 v5, v29, v12, -v13
	v_fma_f32 v6, v31, v14, -v15
	v_sub_f32_e32 v12, v46, v48
	v_sub_f32_e32 v13, v52, v50
	v_add_f32_e32 v14, v46, v52
	v_sub_f32_e32 v15, v48, v46
	v_sub_f32_e32 v17, v50, v52
	v_fma_f32 v21, -0.5, v9, v41
	v_fmac_f32_e32 v49, v8, v24
	v_add_f32_e32 v8, v41, v46
	v_sub_f32_e32 v10, v0, v6
	v_add_f32_e32 v19, v2, v4
	v_add_f32_e32 v9, v12, v13
	v_fma_f32 v13, -0.5, v14, v41
	v_add_f32_e32 v12, v15, v17
	v_mov_b32_e32 v15, v21
	v_sub_f32_e32 v11, v2, v4
	v_add_f32_e32 v8, v8, v48
	v_fma_f32 v19, -0.5, v19, v42
	v_fmac_f32_e32 v21, 0x3f737871, v10
	v_mov_b32_e32 v17, v13
	v_fmac_f32_e32 v15, 0xbf737871, v10
	v_add_f32_e32 v18, v42, v0
	v_sub_f32_e32 v20, v46, v52
	v_add_f32_e32 v8, v8, v50
	v_fmac_f32_e32 v13, 0xbf737871, v11
	v_mov_b32_e32 v22, v19
	v_fmac_f32_e32 v21, 0x3f167918, v11
	v_fmac_f32_e32 v17, 0x3f737871, v11
	;; [unrolled: 1-line block ×3, first 2 shown]
	v_add_f32_e32 v14, v18, v2
	v_add_f32_e32 v18, v8, v52
	v_fmac_f32_e32 v13, 0x3f167918, v10
	v_fmac_f32_e32 v21, 0x3e9e377a, v9
	;; [unrolled: 1-line block ×5, first 2 shown]
	v_sub_f32_e32 v8, v48, v50
	v_sub_f32_e32 v9, v0, v2
	;; [unrolled: 1-line block ×3, first 2 shown]
	v_fmac_f32_e32 v19, 0xbf737871, v20
	v_fmac_f32_e32 v22, 0x3f167918, v8
	v_add_f32_e32 v9, v9, v10
	v_fmac_f32_e32 v19, 0xbf167918, v8
	v_fmac_f32_e32 v22, 0x3e9e377a, v9
	;; [unrolled: 1-line block ×3, first 2 shown]
	v_add_f32_e32 v9, v0, v6
	v_fmac_f32_e32 v42, -0.5, v9
	v_mov_b32_e32 v24, v42
	v_fmac_f32_e32 v24, 0xbf737871, v8
	v_sub_f32_e32 v0, v2, v0
	v_sub_f32_e32 v2, v4, v6
	v_fmac_f32_e32 v42, 0x3f737871, v8
	v_fmac_f32_e32 v24, 0x3f167918, v20
	v_add_f32_e32 v0, v0, v2
	v_fmac_f32_e32 v42, 0xbf167918, v20
	v_fmac_f32_e32 v24, 0x3e9e377a, v0
	;; [unrolled: 1-line block ×3, first 2 shown]
	v_add_f32_e32 v0, v45, v47
	v_mul_f32_e32 v53, v44, v37
	v_add_f32_e32 v0, v0, v49
	v_fmac_f32_e32 v53, v43, v36
	v_add_f32_e32 v0, v0, v51
	v_mul_f32_e32 v37, v43, v37
	v_add_f32_e32 v10, v0, v53
	v_add_f32_e32 v0, v49, v51
	v_fma_f32 v7, v44, v36, -v37
	v_fma_f32 v9, -0.5, v0, v45
	v_add_f32_e32 v14, v14, v4
	v_sub_f32_e32 v0, v1, v7
	v_mov_b32_e32 v11, v9
	v_add_f32_e32 v23, v14, v6
	v_fmac_f32_e32 v11, 0xbf737871, v0
	v_sub_f32_e32 v2, v3, v5
	v_sub_f32_e32 v4, v47, v49
	;; [unrolled: 1-line block ×3, first 2 shown]
	v_fmac_f32_e32 v9, 0x3f737871, v0
	v_fmac_f32_e32 v11, 0xbf167918, v2
	v_add_f32_e32 v4, v4, v6
	v_fmac_f32_e32 v9, 0x3f167918, v2
	v_fmac_f32_e32 v11, 0x3e9e377a, v4
	;; [unrolled: 1-line block ×3, first 2 shown]
	v_add_f32_e32 v4, v47, v53
	v_fmac_f32_e32 v45, -0.5, v4
	v_fmac_f32_e32 v13, 0x3e9e377a, v12
	v_fmac_f32_e32 v17, 0x3e9e377a, v12
	v_mov_b32_e32 v12, v45
	v_fmac_f32_e32 v12, 0x3f737871, v2
	v_fmac_f32_e32 v45, 0xbf737871, v2
	;; [unrolled: 1-line block ×4, first 2 shown]
	v_add_f32_e32 v0, v16, v1
	v_add_f32_e32 v0, v0, v3
	;; [unrolled: 1-line block ×5, first 2 shown]
	v_sub_f32_e32 v4, v49, v47
	v_sub_f32_e32 v6, v51, v53
	v_fma_f32 v14, -0.5, v0, v16
	v_add_f32_e32 v4, v4, v6
	v_sub_f32_e32 v0, v47, v53
	v_mov_b32_e32 v25, v14
	v_fmac_f32_e32 v12, 0x3e9e377a, v4
	v_fmac_f32_e32 v45, 0x3e9e377a, v4
	;; [unrolled: 1-line block ×3, first 2 shown]
	v_sub_f32_e32 v2, v49, v51
	v_sub_f32_e32 v4, v1, v3
	;; [unrolled: 1-line block ×3, first 2 shown]
	v_fmac_f32_e32 v14, 0xbf737871, v0
	v_fmac_f32_e32 v25, 0x3f167918, v2
	v_add_f32_e32 v4, v4, v6
	v_fmac_f32_e32 v14, 0xbf167918, v2
	v_fmac_f32_e32 v25, 0x3e9e377a, v4
	;; [unrolled: 1-line block ×3, first 2 shown]
	v_add_f32_e32 v4, v1, v7
	v_fmac_f32_e32 v16, -0.5, v4
	v_mov_b32_e32 v26, v16
	v_fmac_f32_e32 v26, 0xbf737871, v2
	v_sub_f32_e32 v1, v3, v1
	v_sub_f32_e32 v3, v5, v7
	v_fmac_f32_e32 v16, 0x3f737871, v2
	v_fmac_f32_e32 v26, 0x3f167918, v0
	v_add_f32_e32 v1, v1, v3
	v_fmac_f32_e32 v16, 0xbf167918, v0
	v_fmac_f32_e32 v26, 0x3e9e377a, v1
	;; [unrolled: 1-line block ×3, first 2 shown]
	v_mul_f32_e32 v27, 0xbf167918, v25
	v_mul_f32_e32 v25, 0x3f4f1bbd, v25
	v_fmac_f32_e32 v27, 0x3f4f1bbd, v11
	v_mul_f32_e32 v28, 0xbf737871, v26
	v_mul_f32_e32 v29, 0xbf737871, v16
	;; [unrolled: 1-line block ×3, first 2 shown]
	v_fmac_f32_e32 v25, 0x3f167918, v11
	v_mul_f32_e32 v26, 0x3e9e377a, v26
	v_mul_f32_e32 v31, 0xbe9e377a, v16
	;; [unrolled: 1-line block ×3, first 2 shown]
	v_add_f32_e32 v0, v18, v10
	v_add_f32_e32 v2, v15, v27
	v_fmac_f32_e32 v28, 0x3e9e377a, v12
	v_fmac_f32_e32 v29, 0xbe9e377a, v45
	;; [unrolled: 1-line block ×3, first 2 shown]
	v_add_f32_e32 v1, v23, v20
	v_add_f32_e32 v3, v22, v25
	v_fmac_f32_e32 v26, 0x3f737871, v12
	v_fmac_f32_e32 v31, 0x3f737871, v45
	;; [unrolled: 1-line block ×3, first 2 shown]
	v_add_f32_e32 v4, v17, v28
	v_add_f32_e32 v6, v13, v29
	;; [unrolled: 1-line block ×6, first 2 shown]
	v_sub_f32_e32 v10, v18, v10
	v_sub_f32_e32 v12, v15, v27
	;; [unrolled: 1-line block ×10, first 2 shown]
	ds_write2_b64 v40, v[0:1], v[2:3] offset1:17
	ds_write2_b64 v40, v[4:5], v[6:7] offset0:34 offset1:51
	ds_write2_b64 v40, v[8:9], v[10:11] offset0:68 offset1:85
	;; [unrolled: 1-line block ×4, first 2 shown]
	s_waitcnt lgkmcnt(0)
	s_barrier
	ds_read_b64 v[0:1], v38
	v_sub_u32_e32 v6, v33, v39
                                        ; implicit-def: $vgpr2
                                        ; implicit-def: $vgpr7
                                        ; implicit-def: $vgpr8
                                        ; implicit-def: $vgpr4_vgpr5
	s_and_saveexec_b64 s[4:5], s[0:1]
	s_xor_b64 s[4:5], exec, s[4:5]
	s_cbranch_execz .LBB0_14
; %bb.13:
	v_mov_b32_e32 v33, 0
	v_lshlrev_b64 v[2:3], 3, v[32:33]
	v_mov_b32_e32 v4, s9
	v_add_co_u32_e64 v2, s[0:1], s8, v2
	v_addc_co_u32_e64 v3, s[0:1], v4, v3, s[0:1]
	global_load_dwordx2 v[2:3], v[2:3], off offset:1224
	ds_read_b64 v[4:5], v6 offset:1360
	s_waitcnt lgkmcnt(0)
	v_add_f32_e32 v9, v4, v0
	v_sub_f32_e32 v0, v0, v4
	v_add_f32_e32 v7, v5, v1
	v_sub_f32_e32 v1, v1, v5
	v_mul_f32_e32 v0, 0.5, v0
	v_mul_f32_e32 v4, 0.5, v7
	v_mul_f32_e32 v1, 0.5, v1
	s_waitcnt vmcnt(0)
	v_mul_f32_e32 v5, v3, v0
	v_fma_f32 v8, v4, v3, v1
	v_fma_f32 v1, v4, v3, -v1
	v_fma_f32 v7, 0.5, v9, v5
	v_fma_f32 v5, v9, 0.5, -v5
	v_fma_f32 v8, -v2, v0, v8
	v_fma_f32 v3, -v2, v0, v1
	v_fmac_f32_e32 v7, v2, v4
	v_fma_f32 v2, -v2, v4, v5
	v_mov_b32_e32 v4, v32
	v_mov_b32_e32 v5, v33
                                        ; implicit-def: $vgpr0_vgpr1
                                        ; implicit-def: $vgpr33
.LBB0_14:
	s_andn2_saveexec_b64 s[0:1], s[4:5]
	s_cbranch_execz .LBB0_16
; %bb.15:
	ds_read_b32 v3, v33 offset:684
	v_mov_b32_e32 v4, 0
	s_waitcnt lgkmcnt(1)
	v_add_f32_e32 v7, v0, v1
	v_sub_f32_e32 v2, v0, v1
	v_mov_b32_e32 v5, 0
	v_mov_b32_e32 v8, 0
	s_waitcnt lgkmcnt(0)
	v_xor_b32_e32 v0, 0x80000000, v3
	v_mov_b32_e32 v3, 0
	ds_write_b32 v33, v0 offset:684
.LBB0_16:
	s_or_b64 exec, exec, s[0:1]
	s_add_u32 s0, s8, 0x4c8
	s_waitcnt lgkmcnt(0)
	v_lshlrev_b64 v[0:1], 3, v[4:5]
	s_addc_u32 s1, s9, 0
	v_mov_b32_e32 v5, s1
	v_add_co_u32_e64 v4, s[0:1], s0, v0
	v_addc_co_u32_e64 v5, s[0:1], v5, v1, s[0:1]
	global_load_dwordx2 v[9:10], v[4:5], off offset:136
	global_load_dwordx2 v[11:12], v[4:5], off offset:272
	;; [unrolled: 1-line block ×3, first 2 shown]
	ds_write2_b32 v38, v7, v8 offset1:1
	ds_write_b64 v6, v[2:3] offset:1360
	ds_read_b64 v[2:3], v38 offset:136
	ds_read_b64 v[7:8], v6 offset:1224
	global_load_dwordx2 v[4:5], v[4:5], off offset:544
	s_waitcnt lgkmcnt(0)
	v_add_f32_e32 v15, v2, v7
	v_sub_f32_e32 v2, v2, v7
	v_add_f32_e32 v16, v3, v8
	v_sub_f32_e32 v3, v3, v8
	v_mul_f32_e32 v2, 0.5, v2
	v_mul_f32_e32 v7, 0.5, v16
	;; [unrolled: 1-line block ×3, first 2 shown]
	s_waitcnt vmcnt(3)
	v_mul_f32_e32 v8, v10, v2
	v_fma_f32 v16, v7, v10, v3
	v_fma_f32 v3, v7, v10, -v3
	v_fma_f32 v10, 0.5, v15, v8
	v_fma_f32 v16, -v9, v2, v16
	v_fma_f32 v8, v15, 0.5, -v8
	v_fmac_f32_e32 v10, v9, v7
	v_fma_f32 v3, -v9, v2, v3
	v_fma_f32 v2, -v9, v7, v8
	ds_write2_b32 v38, v10, v16 offset0:34 offset1:35
	ds_write_b64 v6, v[2:3] offset:1224
	ds_read_b64 v[2:3], v38 offset:272
	ds_read_b64 v[7:8], v6 offset:1088
	s_waitcnt lgkmcnt(0)
	v_add_f32_e32 v9, v2, v7
	v_sub_f32_e32 v2, v2, v7
	v_add_f32_e32 v10, v3, v8
	v_sub_f32_e32 v3, v3, v8
	v_mul_f32_e32 v2, 0.5, v2
	v_mul_f32_e32 v7, 0.5, v10
	;; [unrolled: 1-line block ×3, first 2 shown]
	s_waitcnt vmcnt(2)
	v_mul_f32_e32 v8, v12, v2
	v_fma_f32 v10, v7, v12, v3
	v_fma_f32 v3, v7, v12, -v3
	v_fma_f32 v12, 0.5, v9, v8
	v_fma_f32 v10, -v11, v2, v10
	v_fma_f32 v8, v9, 0.5, -v8
	v_fmac_f32_e32 v12, v11, v7
	v_fma_f32 v3, -v11, v2, v3
	v_fma_f32 v2, -v11, v7, v8
	ds_write2_b32 v38, v12, v10 offset0:68 offset1:69
	ds_write_b64 v6, v[2:3] offset:1088
	ds_read_b64 v[2:3], v38 offset:408
	ds_read_b64 v[7:8], v6 offset:952
	s_waitcnt lgkmcnt(0)
	v_add_f32_e32 v9, v2, v7
	v_sub_f32_e32 v2, v2, v7
	v_add_f32_e32 v10, v3, v8
	v_sub_f32_e32 v3, v3, v8
	v_mul_f32_e32 v2, 0.5, v2
	v_mul_f32_e32 v7, 0.5, v10
	;; [unrolled: 1-line block ×3, first 2 shown]
	s_waitcnt vmcnt(1)
	v_mul_f32_e32 v8, v14, v2
	v_fma_f32 v10, v7, v14, v3
	v_fma_f32 v11, 0.5, v9, v8
	v_fma_f32 v3, v7, v14, -v3
	v_fma_f32 v10, -v13, v2, v10
	v_fma_f32 v8, v9, 0.5, -v8
	v_fmac_f32_e32 v11, v13, v7
	v_fma_f32 v3, -v13, v2, v3
	v_fma_f32 v2, -v13, v7, v8
	ds_write2_b32 v38, v11, v10 offset0:102 offset1:103
	ds_write_b64 v6, v[2:3] offset:952
	ds_read_b64 v[2:3], v38 offset:544
	ds_read_b64 v[7:8], v6 offset:816
	s_waitcnt lgkmcnt(0)
	v_add_f32_e32 v9, v2, v7
	v_sub_f32_e32 v2, v2, v7
	v_add_f32_e32 v10, v3, v8
	v_sub_f32_e32 v3, v3, v8
	v_mul_f32_e32 v2, 0.5, v2
	v_mul_f32_e32 v7, 0.5, v10
	v_mul_f32_e32 v3, 0.5, v3
	s_waitcnt vmcnt(0)
	v_mul_f32_e32 v8, v5, v2
	v_fma_f32 v10, v7, v5, v3
	v_fma_f32 v3, v7, v5, -v3
	v_fma_f32 v5, 0.5, v9, v8
	v_fma_f32 v10, -v4, v2, v10
	v_fma_f32 v8, v9, 0.5, -v8
	v_fmac_f32_e32 v5, v4, v7
	v_fma_f32 v3, -v4, v2, v3
	v_fma_f32 v2, -v4, v7, v8
	ds_write2_b32 v38, v5, v10 offset0:136 offset1:137
	ds_write_b64 v6, v[2:3] offset:816
	s_waitcnt lgkmcnt(0)
	s_barrier
	s_and_saveexec_b64 s[0:1], vcc
	s_cbranch_execz .LBB0_19
; %bb.17:
	ds_read2_b64 v[4:7], v38 offset1:17
	v_mov_b32_e32 v3, s3
	v_add_co_u32_e32 v2, vcc, s2, v34
	v_addc_co_u32_e32 v3, vcc, v3, v35, vcc
	v_add_co_u32_e32 v0, vcc, v2, v0
	v_addc_co_u32_e32 v1, vcc, v3, v1, vcc
	ds_read2_b64 v[8:11], v38 offset0:34 offset1:51
	s_waitcnt lgkmcnt(1)
	global_store_dwordx2 v[0:1], v[4:5], off
	global_store_dwordx2 v[0:1], v[6:7], off offset:136
	ds_read2_b64 v[4:7], v38 offset0:68 offset1:85
	ds_read2_b64 v[12:15], v38 offset0:102 offset1:119
	v_cmp_eq_u32_e32 vcc, 16, v32
	s_waitcnt lgkmcnt(2)
	global_store_dwordx2 v[0:1], v[8:9], off offset:272
	global_store_dwordx2 v[0:1], v[10:11], off offset:408
	ds_read2_b64 v[8:11], v38 offset0:136 offset1:153
	s_waitcnt lgkmcnt(2)
	global_store_dwordx2 v[0:1], v[4:5], off offset:544
	global_store_dwordx2 v[0:1], v[6:7], off offset:680
	s_waitcnt lgkmcnt(1)
	global_store_dwordx2 v[0:1], v[12:13], off offset:816
	global_store_dwordx2 v[0:1], v[14:15], off offset:952
	;; [unrolled: 3-line block ×3, first 2 shown]
	s_and_b64 exec, exec, vcc
	s_cbranch_execz .LBB0_19
; %bb.18:
	ds_read_b64 v[0:1], v38 offset:1232
	s_waitcnt lgkmcnt(0)
	global_store_dwordx2 v[2:3], v[0:1], off offset:1360
.LBB0_19:
	s_endpgm
	.section	.rodata,"a",@progbits
	.p2align	6, 0x0
	.amdhsa_kernel fft_rtc_back_len170_factors_17_10_wgs_119_tpt_17_halfLds_sp_ip_CI_unitstride_sbrr_R2C_dirReg
		.amdhsa_group_segment_fixed_size 0
		.amdhsa_private_segment_fixed_size 0
		.amdhsa_kernarg_size 88
		.amdhsa_user_sgpr_count 6
		.amdhsa_user_sgpr_private_segment_buffer 1
		.amdhsa_user_sgpr_dispatch_ptr 0
		.amdhsa_user_sgpr_queue_ptr 0
		.amdhsa_user_sgpr_kernarg_segment_ptr 1
		.amdhsa_user_sgpr_dispatch_id 0
		.amdhsa_user_sgpr_flat_scratch_init 0
		.amdhsa_user_sgpr_private_segment_size 0
		.amdhsa_uses_dynamic_stack 0
		.amdhsa_system_sgpr_private_segment_wavefront_offset 0
		.amdhsa_system_sgpr_workgroup_id_x 1
		.amdhsa_system_sgpr_workgroup_id_y 0
		.amdhsa_system_sgpr_workgroup_id_z 0
		.amdhsa_system_sgpr_workgroup_info 0
		.amdhsa_system_vgpr_workitem_id 0
		.amdhsa_next_free_vgpr 182
		.amdhsa_next_free_sgpr 22
		.amdhsa_reserve_vcc 1
		.amdhsa_reserve_flat_scratch 0
		.amdhsa_float_round_mode_32 0
		.amdhsa_float_round_mode_16_64 0
		.amdhsa_float_denorm_mode_32 3
		.amdhsa_float_denorm_mode_16_64 3
		.amdhsa_dx10_clamp 1
		.amdhsa_ieee_mode 1
		.amdhsa_fp16_overflow 0
		.amdhsa_exception_fp_ieee_invalid_op 0
		.amdhsa_exception_fp_denorm_src 0
		.amdhsa_exception_fp_ieee_div_zero 0
		.amdhsa_exception_fp_ieee_overflow 0
		.amdhsa_exception_fp_ieee_underflow 0
		.amdhsa_exception_fp_ieee_inexact 0
		.amdhsa_exception_int_div_zero 0
	.end_amdhsa_kernel
	.text
.Lfunc_end0:
	.size	fft_rtc_back_len170_factors_17_10_wgs_119_tpt_17_halfLds_sp_ip_CI_unitstride_sbrr_R2C_dirReg, .Lfunc_end0-fft_rtc_back_len170_factors_17_10_wgs_119_tpt_17_halfLds_sp_ip_CI_unitstride_sbrr_R2C_dirReg
                                        ; -- End function
	.section	.AMDGPU.csdata,"",@progbits
; Kernel info:
; codeLenInByte = 8860
; NumSgprs: 26
; NumVgprs: 182
; ScratchSize: 0
; MemoryBound: 0
; FloatMode: 240
; IeeeMode: 1
; LDSByteSize: 0 bytes/workgroup (compile time only)
; SGPRBlocks: 3
; VGPRBlocks: 45
; NumSGPRsForWavesPerEU: 26
; NumVGPRsForWavesPerEU: 182
; Occupancy: 1
; WaveLimiterHint : 1
; COMPUTE_PGM_RSRC2:SCRATCH_EN: 0
; COMPUTE_PGM_RSRC2:USER_SGPR: 6
; COMPUTE_PGM_RSRC2:TRAP_HANDLER: 0
; COMPUTE_PGM_RSRC2:TGID_X_EN: 1
; COMPUTE_PGM_RSRC2:TGID_Y_EN: 0
; COMPUTE_PGM_RSRC2:TGID_Z_EN: 0
; COMPUTE_PGM_RSRC2:TIDIG_COMP_CNT: 0
	.type	__hip_cuid_5718a3d15bd49d95,@object ; @__hip_cuid_5718a3d15bd49d95
	.section	.bss,"aw",@nobits
	.globl	__hip_cuid_5718a3d15bd49d95
__hip_cuid_5718a3d15bd49d95:
	.byte	0                               ; 0x0
	.size	__hip_cuid_5718a3d15bd49d95, 1

	.ident	"AMD clang version 19.0.0git (https://github.com/RadeonOpenCompute/llvm-project roc-6.4.0 25133 c7fe45cf4b819c5991fe208aaa96edf142730f1d)"
	.section	".note.GNU-stack","",@progbits
	.addrsig
	.addrsig_sym __hip_cuid_5718a3d15bd49d95
	.amdgpu_metadata
---
amdhsa.kernels:
  - .args:
      - .actual_access:  read_only
        .address_space:  global
        .offset:         0
        .size:           8
        .value_kind:     global_buffer
      - .offset:         8
        .size:           8
        .value_kind:     by_value
      - .actual_access:  read_only
        .address_space:  global
        .offset:         16
        .size:           8
        .value_kind:     global_buffer
      - .actual_access:  read_only
        .address_space:  global
        .offset:         24
        .size:           8
        .value_kind:     global_buffer
      - .offset:         32
        .size:           8
        .value_kind:     by_value
      - .actual_access:  read_only
        .address_space:  global
        .offset:         40
        .size:           8
        .value_kind:     global_buffer
      - .actual_access:  read_only
        .address_space:  global
        .offset:         48
        .size:           8
        .value_kind:     global_buffer
      - .offset:         56
        .size:           4
        .value_kind:     by_value
      - .actual_access:  read_only
        .address_space:  global
        .offset:         64
        .size:           8
        .value_kind:     global_buffer
      - .actual_access:  read_only
        .address_space:  global
        .offset:         72
        .size:           8
        .value_kind:     global_buffer
      - .address_space:  global
        .offset:         80
        .size:           8
        .value_kind:     global_buffer
    .group_segment_fixed_size: 0
    .kernarg_segment_align: 8
    .kernarg_segment_size: 88
    .language:       OpenCL C
    .language_version:
      - 2
      - 0
    .max_flat_workgroup_size: 119
    .name:           fft_rtc_back_len170_factors_17_10_wgs_119_tpt_17_halfLds_sp_ip_CI_unitstride_sbrr_R2C_dirReg
    .private_segment_fixed_size: 0
    .sgpr_count:     26
    .sgpr_spill_count: 0
    .symbol:         fft_rtc_back_len170_factors_17_10_wgs_119_tpt_17_halfLds_sp_ip_CI_unitstride_sbrr_R2C_dirReg.kd
    .uniform_work_group_size: 1
    .uses_dynamic_stack: false
    .vgpr_count:     182
    .vgpr_spill_count: 0
    .wavefront_size: 64
amdhsa.target:   amdgcn-amd-amdhsa--gfx906
amdhsa.version:
  - 1
  - 2
...

	.end_amdgpu_metadata
